;; amdgpu-corpus repo=ROCm/rocFFT kind=compiled arch=gfx906 opt=O3
	.text
	.amdgcn_target "amdgcn-amd-amdhsa--gfx906"
	.amdhsa_code_object_version 6
	.protected	fft_rtc_fwd_len1275_factors_17_3_5_5_wgs_255_tpt_85_halfLds_half_ip_CI_unitstride_sbrr_dirReg ; -- Begin function fft_rtc_fwd_len1275_factors_17_3_5_5_wgs_255_tpt_85_halfLds_half_ip_CI_unitstride_sbrr_dirReg
	.globl	fft_rtc_fwd_len1275_factors_17_3_5_5_wgs_255_tpt_85_halfLds_half_ip_CI_unitstride_sbrr_dirReg
	.p2align	8
	.type	fft_rtc_fwd_len1275_factors_17_3_5_5_wgs_255_tpt_85_halfLds_half_ip_CI_unitstride_sbrr_dirReg,@function
fft_rtc_fwd_len1275_factors_17_3_5_5_wgs_255_tpt_85_halfLds_half_ip_CI_unitstride_sbrr_dirReg: ; @fft_rtc_fwd_len1275_factors_17_3_5_5_wgs_255_tpt_85_halfLds_half_ip_CI_unitstride_sbrr_dirReg
; %bb.0:
	s_load_dwordx2 s[12:13], s[4:5], 0x50
	s_load_dwordx4 s[8:11], s[4:5], 0x0
	s_load_dwordx2 s[2:3], s[4:5], 0x18
	v_mul_u32_u24_e32 v1, 0x304, v0
	v_lshrrev_b32_e32 v1, 16, v1
	v_mad_u64_u32 v[4:5], s[0:1], s6, 3, v[1:2]
	v_mov_b32_e32 v6, 0
	s_waitcnt lgkmcnt(0)
	v_cmp_lt_u64_e64 s[0:1], s[10:11], 2
	v_mov_b32_e32 v5, v6
	v_mov_b32_e32 v1, 0
	;; [unrolled: 1-line block ×3, first 2 shown]
	s_and_b64 vcc, exec, s[0:1]
	v_mov_b32_e32 v2, 0
	v_mov_b32_e32 v10, v4
	s_cbranch_vccnz .LBB0_8
; %bb.1:
	s_load_dwordx2 s[0:1], s[4:5], 0x10
	s_add_u32 s6, s2, 8
	s_addc_u32 s7, s3, 0
	v_mov_b32_e32 v1, 0
	v_mov_b32_e32 v9, v5
	s_waitcnt lgkmcnt(0)
	s_add_u32 s16, s0, 8
	s_mov_b64 s[14:15], 1
	v_mov_b32_e32 v2, 0
	s_addc_u32 s17, s1, 0
	v_mov_b32_e32 v8, v4
.LBB0_2:                                ; =>This Inner Loop Header: Depth=1
	s_load_dwordx2 s[18:19], s[16:17], 0x0
                                        ; implicit-def: $vgpr10_vgpr11
	s_waitcnt lgkmcnt(0)
	v_or_b32_e32 v7, s19, v9
	v_cmp_ne_u64_e32 vcc, 0, v[6:7]
	s_and_saveexec_b64 s[0:1], vcc
	s_xor_b64 s[20:21], exec, s[0:1]
	s_cbranch_execz .LBB0_4
; %bb.3:                                ;   in Loop: Header=BB0_2 Depth=1
	v_cvt_f32_u32_e32 v3, s18
	v_cvt_f32_u32_e32 v5, s19
	s_sub_u32 s0, 0, s18
	s_subb_u32 s1, 0, s19
	v_mac_f32_e32 v3, 0x4f800000, v5
	v_rcp_f32_e32 v3, v3
	v_mul_f32_e32 v3, 0x5f7ffffc, v3
	v_mul_f32_e32 v5, 0x2f800000, v3
	v_trunc_f32_e32 v5, v5
	v_mac_f32_e32 v3, 0xcf800000, v5
	v_cvt_u32_f32_e32 v5, v5
	v_cvt_u32_f32_e32 v3, v3
	v_mul_lo_u32 v7, s0, v5
	v_mul_hi_u32 v10, s0, v3
	v_mul_lo_u32 v12, s1, v3
	v_mul_lo_u32 v11, s0, v3
	v_add_u32_e32 v7, v10, v7
	v_add_u32_e32 v7, v7, v12
	v_mul_hi_u32 v10, v3, v11
	v_mul_lo_u32 v12, v3, v7
	v_mul_hi_u32 v14, v3, v7
	v_mul_hi_u32 v13, v5, v11
	v_mul_lo_u32 v11, v5, v11
	v_mul_hi_u32 v15, v5, v7
	v_add_co_u32_e32 v10, vcc, v10, v12
	v_addc_co_u32_e32 v12, vcc, 0, v14, vcc
	v_mul_lo_u32 v7, v5, v7
	v_add_co_u32_e32 v10, vcc, v10, v11
	v_addc_co_u32_e32 v10, vcc, v12, v13, vcc
	v_addc_co_u32_e32 v11, vcc, 0, v15, vcc
	v_add_co_u32_e32 v7, vcc, v10, v7
	v_addc_co_u32_e32 v10, vcc, 0, v11, vcc
	v_add_co_u32_e32 v3, vcc, v3, v7
	v_addc_co_u32_e32 v5, vcc, v5, v10, vcc
	v_mul_lo_u32 v7, s0, v5
	v_mul_hi_u32 v10, s0, v3
	v_mul_lo_u32 v11, s1, v3
	v_mul_lo_u32 v12, s0, v3
	v_add_u32_e32 v7, v10, v7
	v_add_u32_e32 v7, v7, v11
	v_mul_lo_u32 v13, v3, v7
	v_mul_hi_u32 v14, v3, v12
	v_mul_hi_u32 v15, v3, v7
	;; [unrolled: 1-line block ×3, first 2 shown]
	v_mul_lo_u32 v12, v5, v12
	v_mul_hi_u32 v10, v5, v7
	v_add_co_u32_e32 v13, vcc, v14, v13
	v_addc_co_u32_e32 v14, vcc, 0, v15, vcc
	v_mul_lo_u32 v7, v5, v7
	v_add_co_u32_e32 v12, vcc, v13, v12
	v_addc_co_u32_e32 v11, vcc, v14, v11, vcc
	v_addc_co_u32_e32 v10, vcc, 0, v10, vcc
	v_add_co_u32_e32 v7, vcc, v11, v7
	v_addc_co_u32_e32 v10, vcc, 0, v10, vcc
	v_add_co_u32_e32 v3, vcc, v3, v7
	v_addc_co_u32_e32 v5, vcc, v5, v10, vcc
	v_mad_u64_u32 v[10:11], s[0:1], v8, v5, 0
	v_mul_hi_u32 v7, v8, v3
	v_mad_u64_u32 v[12:13], s[0:1], v9, v5, 0
	v_add_co_u32_e32 v7, vcc, v7, v10
	v_addc_co_u32_e32 v14, vcc, 0, v11, vcc
	v_mad_u64_u32 v[10:11], s[0:1], v9, v3, 0
	v_add_co_u32_e32 v3, vcc, v7, v10
	v_addc_co_u32_e32 v3, vcc, v14, v11, vcc
	v_addc_co_u32_e32 v5, vcc, 0, v13, vcc
	v_add_co_u32_e32 v3, vcc, v3, v12
	v_addc_co_u32_e32 v5, vcc, 0, v5, vcc
	v_mul_lo_u32 v7, s19, v3
	v_mul_lo_u32 v12, s18, v5
	v_mad_u64_u32 v[10:11], s[0:1], s18, v3, 0
	v_add3_u32 v7, v11, v12, v7
	v_sub_u32_e32 v11, v9, v7
	v_mov_b32_e32 v12, s19
	v_sub_co_u32_e32 v10, vcc, v8, v10
	v_subb_co_u32_e64 v11, s[0:1], v11, v12, vcc
	v_subrev_co_u32_e64 v12, s[0:1], s18, v10
	v_subbrev_co_u32_e64 v11, s[0:1], 0, v11, s[0:1]
	v_cmp_le_u32_e64 s[0:1], s19, v11
	v_cndmask_b32_e64 v13, 0, -1, s[0:1]
	v_cmp_le_u32_e64 s[0:1], s18, v12
	v_cndmask_b32_e64 v12, 0, -1, s[0:1]
	v_cmp_eq_u32_e64 s[0:1], s19, v11
	v_cndmask_b32_e64 v11, v13, v12, s[0:1]
	v_add_co_u32_e64 v12, s[0:1], 2, v3
	v_addc_co_u32_e64 v13, s[0:1], 0, v5, s[0:1]
	v_add_co_u32_e64 v14, s[0:1], 1, v3
	v_addc_co_u32_e64 v15, s[0:1], 0, v5, s[0:1]
	v_subb_co_u32_e32 v7, vcc, v9, v7, vcc
	v_cmp_ne_u32_e64 s[0:1], 0, v11
	v_cmp_le_u32_e32 vcc, s19, v7
	v_cndmask_b32_e64 v11, v15, v13, s[0:1]
	v_cndmask_b32_e64 v13, 0, -1, vcc
	v_cmp_le_u32_e32 vcc, s18, v10
	v_cndmask_b32_e64 v10, 0, -1, vcc
	v_cmp_eq_u32_e32 vcc, s19, v7
	v_cndmask_b32_e32 v7, v13, v10, vcc
	v_cmp_ne_u32_e32 vcc, 0, v7
	v_cndmask_b32_e32 v11, v5, v11, vcc
	v_cndmask_b32_e64 v5, v14, v12, s[0:1]
	v_cndmask_b32_e32 v10, v3, v5, vcc
.LBB0_4:                                ;   in Loop: Header=BB0_2 Depth=1
	s_andn2_saveexec_b64 s[0:1], s[20:21]
	s_cbranch_execz .LBB0_6
; %bb.5:                                ;   in Loop: Header=BB0_2 Depth=1
	v_cvt_f32_u32_e32 v3, s18
	s_sub_i32 s20, 0, s18
	v_mov_b32_e32 v11, v6
	v_rcp_iflag_f32_e32 v3, v3
	v_mul_f32_e32 v3, 0x4f7ffffe, v3
	v_cvt_u32_f32_e32 v3, v3
	v_mul_lo_u32 v5, s20, v3
	v_mul_hi_u32 v5, v3, v5
	v_add_u32_e32 v3, v3, v5
	v_mul_hi_u32 v3, v8, v3
	v_mul_lo_u32 v5, v3, s18
	v_add_u32_e32 v7, 1, v3
	v_sub_u32_e32 v5, v8, v5
	v_subrev_u32_e32 v10, s18, v5
	v_cmp_le_u32_e32 vcc, s18, v5
	v_cndmask_b32_e32 v5, v5, v10, vcc
	v_cndmask_b32_e32 v3, v3, v7, vcc
	v_add_u32_e32 v7, 1, v3
	v_cmp_le_u32_e32 vcc, s18, v5
	v_cndmask_b32_e32 v10, v3, v7, vcc
.LBB0_6:                                ;   in Loop: Header=BB0_2 Depth=1
	s_or_b64 exec, exec, s[0:1]
	v_mul_lo_u32 v3, v11, s18
	v_mul_lo_u32 v5, v10, s19
	v_mad_u64_u32 v[12:13], s[0:1], v10, s18, 0
	s_load_dwordx2 s[0:1], s[6:7], 0x0
	s_add_u32 s14, s14, 1
	v_add3_u32 v3, v13, v5, v3
	v_sub_co_u32_e32 v5, vcc, v8, v12
	v_subb_co_u32_e32 v3, vcc, v9, v3, vcc
	s_waitcnt lgkmcnt(0)
	v_mul_lo_u32 v3, s0, v3
	v_mul_lo_u32 v7, s1, v5
	v_mad_u64_u32 v[1:2], s[0:1], s0, v5, v[1:2]
	s_addc_u32 s15, s15, 0
	s_add_u32 s6, s6, 8
	v_add3_u32 v2, v7, v2, v3
	v_mov_b32_e32 v7, s10
	v_mov_b32_e32 v8, s11
	s_addc_u32 s7, s7, 0
	v_cmp_ge_u64_e32 vcc, s[14:15], v[7:8]
	s_add_u32 s16, s16, 8
	s_addc_u32 s17, s17, 0
	s_cbranch_vccnz .LBB0_8
; %bb.7:                                ;   in Loop: Header=BB0_2 Depth=1
	v_mov_b32_e32 v8, v10
	v_mov_b32_e32 v9, v11
	s_branch .LBB0_2
.LBB0_8:
	s_lshl_b64 s[0:1], s[10:11], 3
	s_add_u32 s0, s2, s0
	s_addc_u32 s1, s3, s1
	s_load_dwordx2 s[2:3], s[0:1], 0x0
	s_load_dwordx2 s[6:7], s[4:5], 0x20
                                        ; implicit-def: $vgpr19
                                        ; implicit-def: $vgpr8
                                        ; implicit-def: $vgpr21
                                        ; implicit-def: $vgpr9
                                        ; implicit-def: $vgpr23
                                        ; implicit-def: $vgpr24
                                        ; implicit-def: $vgpr25
                                        ; implicit-def: $vgpr12
                                        ; implicit-def: $vgpr27
                                        ; implicit-def: $vgpr13
                                        ; implicit-def: $vgpr28
                                        ; implicit-def: $vgpr14
                                        ; implicit-def: $vgpr29
                                        ; implicit-def: $vgpr15
                                        ; implicit-def: $vgpr39
                                        ; implicit-def: $vgpr31
                                        ; implicit-def: $vgpr38
                                        ; implicit-def: $vgpr30
                                        ; implicit-def: $vgpr37
                                        ; implicit-def: $vgpr26
                                        ; implicit-def: $vgpr36
                                        ; implicit-def: $vgpr22
                                        ; implicit-def: $vgpr35
                                        ; implicit-def: $vgpr20
                                        ; implicit-def: $vgpr34
                                        ; implicit-def: $vgpr18
                                        ; implicit-def: $vgpr33
                                        ; implicit-def: $vgpr17
                                        ; implicit-def: $vgpr32
                                        ; implicit-def: $vgpr16
	s_waitcnt lgkmcnt(0)
	v_mad_u64_u32 v[1:2], s[0:1], s2, v10, v[1:2]
	s_mov_b32 s0, 0x3030304
	v_mul_lo_u32 v3, s2, v11
	v_mul_lo_u32 v5, s3, v10
	v_mul_hi_u32 v6, v0, s0
	v_cmp_gt_u64_e64 s[0:1], s[6:7], v[10:11]
	s_movk_i32 s2, 0x4b
	v_add3_u32 v2, v5, v2, v3
	v_mul_u32_u24_e32 v3, 0x55, v6
	v_sub_u32_e32 v0, v0, v3
	v_cmp_gt_u32_e64 s[2:3], s2, v0
	v_lshlrev_b64 v[2:3], 2, v[1:2]
	s_and_b64 s[6:7], s[0:1], s[2:3]
	v_mov_b32_e32 v5, 0
	v_mov_b32_e32 v6, 0
                                        ; implicit-def: $vgpr10
                                        ; implicit-def: $vgpr11
	s_and_saveexec_b64 s[4:5], s[6:7]
	s_cbranch_execz .LBB0_10
; %bb.9:
	v_mov_b32_e32 v1, 0
	v_mov_b32_e32 v5, s13
	v_add_co_u32_e32 v7, vcc, s12, v2
	v_addc_co_u32_e32 v8, vcc, v5, v3, vcc
	v_lshlrev_b64 v[5:6], 2, v[0:1]
	s_movk_i32 s6, 0x1000
	v_add_co_u32_e32 v23, vcc, v7, v5
	v_addc_co_u32_e32 v24, vcc, v8, v6, vcc
	v_add_co_u32_e32 v27, vcc, s6, v23
	global_load_dword v6, v[23:24], off
	global_load_dword v8, v[23:24], off offset:300
	global_load_dword v9, v[23:24], off offset:600
	;; [unrolled: 1-line block ×7, first 2 shown]
	v_addc_co_u32_e32 v28, vcc, 0, v24, vcc
	global_load_dword v15, v[23:24], off offset:2400
	global_load_dword v16, v[23:24], off offset:2700
	;; [unrolled: 1-line block ×9, first 2 shown]
	s_waitcnt vmcnt(16)
	v_lshrrev_b32_e32 v5, 16, v6
	s_waitcnt vmcnt(15)
	v_lshrrev_b32_e32 v19, 16, v8
	;; [unrolled: 2-line block ×17, first 2 shown]
.LBB0_10:
	s_or_b64 exec, exec, s[4:5]
	s_mov_b32 s4, 0xaaaaaaab
	v_mul_hi_u32 v1, v4, s4
	v_lshrrev_b32_e32 v1, 1, v1
	v_lshl_add_u32 v1, v1, 1, v1
	v_sub_u32_e32 v1, v4, v1
	v_mul_u32_u24_e32 v1, 0x4fb, v1
	v_lshlrev_b32_e32 v1, 1, v1
	s_and_saveexec_b64 s[4:5], s[2:3]
	s_cbranch_execz .LBB0_12
; %bb.11:
	s_mov_b32 s10, 0x39e93b76
	v_add_f16_e32 v4, v8, v31
	s_mov_b32 s6, 0xb964b5c8
	s_mov_b32 s11, 0x2de839e9
	v_sub_f16_e32 v7, v19, v39
	v_pk_mul_f16 v44, v4, s10 op_sel_hi:[0,1]
	v_add_f16_e32 v43, v9, v30
	s_mov_b32 s7, 0xbbf7b964
	v_pk_fma_f16 v40, v7, s6, v44 op_sel_hi:[0,1,1] neg_lo:[1,0,0] neg_hi:[1,0,0]
	v_sub_f16_e32 v45, v21, v38
	v_pk_mul_f16 v46, v43, s11 op_sel_hi:[0,1]
	s_mov_b32 s11, 0xb8d23722
	v_add_f16_e32 v47, v10, v26
	v_pk_add_f16 v40, v6, v40 op_sel_hi:[0,1]
	v_pk_fma_f16 v41, v45, s7, v46 op_sel_hi:[0,1,1] neg_lo:[1,0,0] neg_hi:[1,0,0]
	s_mov_b32 s10, 0xba62bb29
	v_sub_f16_e32 v48, v23, v37
	v_pk_mul_f16 v49, v47, s11 op_sel_hi:[0,1]
	s_mov_b32 s14, 0xbbdd2de8
	v_add_f16_e32 v50, v11, v22
	v_pk_add_f16 v40, v40, v41
	v_pk_fma_f16 v41, v48, s10, v49 op_sel_hi:[0,1,1] neg_lo:[1,0,0] neg_hi:[1,0,0]
	s_mov_b32 s11, 0xb1e1bbf7
	v_sub_f16_e32 v51, v24, v36
	v_pk_mul_f16 v52, v50, s14 op_sel_hi:[0,1]
	s_mov_b32 s15, 0xbacdb461
	v_add_f16_e32 v53, v12, v20
	v_pk_add_f16 v40, v40, v41
	;; [unrolled: 7-line block ×4, first 2 shown]
	v_pk_fma_f16 v41, v57, s15, v58 op_sel_hi:[0,1,1] neg_lo:[1,0,0] neg_hi:[1,0,0]
	s_mov_b32 s16, 0x3b29b836
	v_sub_f16_e32 v60, v28, v33
	v_pk_mul_f16 v61, v59, s17 op_sel_hi:[0,1]
	s_mov_b32 s19, 0x2de83722
	v_pk_add_f16 v40, v40, v41
	v_pk_fma_f16 v41, v60, s16, v61 op_sel_hi:[0,1,1] neg_lo:[1,0,0] neg_hi:[1,0,0]
	s_mov_b32 s17, 0xbbf7bb29
	s_mov_b32 s20, 0xbbddb8d2
	v_pk_mul_f16 v62, v4, s19 op_sel_hi:[0,1]
	v_pk_add_f16 v40, v40, v41
	s_mov_b32 s18, 0xb1e1ba62
	v_pk_fma_f16 v41, v7, s17, v62 op_sel_hi:[0,1,1] neg_lo:[1,0,0] neg_hi:[1,0,0]
	v_pk_mul_f16 v63, v43, s20 op_sel_hi:[0,1]
	s_mov_b32 s19, 0xb461bbdd
	v_pk_add_f16 v41, v6, v41 op_sel_hi:[0,1]
	v_pk_fma_f16 v42, v45, s18, v63 op_sel_hi:[0,1,1] neg_lo:[1,0,0] neg_hi:[1,0,0]
	s_mov_b32 s20, 0x3bb231e1
	v_pk_mul_f16 v64, v47, s19 op_sel_hi:[0,1]
	s_mov_b32 s19, 0x3b76b461
	v_pk_add_f16 v41, v41, v42
	v_pk_fma_f16 v42, v48, s20, v64 op_sel_hi:[0,1,1] neg_lo:[1,0,0] neg_hi:[1,0,0]
	s_mov_b32 s21, 0x35c83bb2
	v_pk_mul_f16 v65, v50, s19 op_sel_hi:[0,1]
	s_mov_b32 s19, 0x372239e9
	v_pk_add_f16 v41, v41, v42
	;; [unrolled: 5-line block ×4, first 2 shown]
	v_pk_fma_f16 v42, v57, s23, v67 op_sel_hi:[0,1,1] neg_lo:[1,0,0] neg_hi:[1,0,0]
	s_mov_b32 s24, 0x3a62bbf7
	v_pk_mul_f16 v68, v59, s19 op_sel_hi:[0,1]
	s_mov_b32 s26, 0x39e9bacd
	v_add_f16_e32 v69, v15, v16
	v_pk_add_f16 v41, v41, v42
	v_pk_fma_f16 v42, v60, s24, v68 op_sel_hi:[0,1,1] neg_lo:[1,0,0] neg_hi:[1,0,0]
	s_mov_b32 s25, 0x3b76bbdd
	s_mov_b32 s27, 0x3964b836
	v_sub_f16_e32 v70, v29, v32
	v_pk_mul_f16 v72, v69, s26 op_sel_hi:[0,1]
	v_pk_add_f16 v41, v41, v42
	s_mov_b32 s19, 0x35c8b1e1
	v_pk_mul_f16 v71, v69, s25 op_sel_hi:[0,1]
	v_pk_fma_f16 v73, v70, s27, v72 op_sel_hi:[0,1,1] neg_lo:[1,0,0] neg_hi:[1,0,0]
	s_mov_b32 s25, 0xb8d2b461
	v_pk_fma_f16 v42, v70, s19, v71 op_sel_hi:[0,1,1] neg_lo:[1,0,0] neg_hi:[1,0,0]
	v_pk_add_f16 v41, v41, v73
	s_mov_b32 s26, 0xba62bbb2
	s_mov_b32 s28, 0xb461bacd
	v_pk_mul_f16 v73, v4, s25 op_sel_hi:[0,1]
	v_pk_add_f16 v40, v40, v42
	s_mov_b32 s29, 0x3bb23836
	v_pk_fma_f16 v42, v7, s26, v73 op_sel_hi:[0,1,1] neg_lo:[1,0,0] neg_hi:[1,0,0]
	v_pk_mul_f16 v74, v43, s28 op_sel_hi:[0,1]
	v_pk_add_f16 v42, v6, v42 op_sel_hi:[0,1]
	v_pk_fma_f16 v75, v45, s29, v74 op_sel_hi:[0,1,1] neg_lo:[1,0,0] neg_hi:[1,0,0]
	s_mov_b32 s25, 0x3b7639e9
	v_pk_add_f16 v42, v42, v75
	s_mov_b32 s28, 0xb5c83964
	v_pk_mul_f16 v75, v47, s25 op_sel_hi:[0,1]
	v_pk_fma_f16 v76, v48, s28, v75 op_sel_hi:[0,1,1] neg_lo:[1,0,0] neg_hi:[1,0,0]
	s_mov_b32 s25, 0xbacd3722
	v_pk_add_f16 v42, v42, v76
	s_mov_b32 s30, 0xb836bb29
	v_pk_mul_f16 v76, v50, s25 op_sel_hi:[0,1]
	;; [unrolled: 5-line block ×6, first 2 shown]
	s_mov_b32 s25, 0xbbddbacd
	v_pk_fma_f16 v81, v70, s35, v80 op_sel_hi:[0,1,1] neg_lo:[1,0,0] neg_hi:[1,0,0]
	v_pk_mul_f16 v4, v4, s25 op_sel_hi:[0,1]
	s_mov_b32 s25, 0xb1e1b836
	s_mov_b32 s36, 0x3b763722
	v_pk_add_f16 v42, v42, v81
	v_pk_mul_f16 v81, v43, s36 op_sel_hi:[0,1]
	s_mov_b32 s36, 0x35c83b29
	v_pk_fma_f16 v43, v7, s25, v4 op_sel_hi:[0,1,1] neg_lo:[1,0,0] neg_hi:[1,0,0]
	s_mov_b32 s37, 0xbacd2de8
	v_pk_add_f16 v43, v6, v43 op_sel_hi:[0,1]
	v_pk_fma_f16 v82, v45, s36, v81 op_sel_hi:[0,1,1] neg_lo:[1,0,0] neg_hi:[1,0,0]
	v_pk_mul_f16 v47, v47, s37 op_sel_hi:[0,1]
	s_mov_b32 s37, 0xb836bbf7
	s_mov_b32 s38, 0x39e9b8d2
	v_pk_add_f16 v43, v43, v82
	v_pk_fma_f16 v82, v48, s37, v47 op_sel_hi:[0,1,1] neg_lo:[1,0,0] neg_hi:[1,0,0]
	v_pk_mul_f16 v50, v50, s38 op_sel_hi:[0,1]
	s_mov_b32 s38, 0x39643a62
	s_mov_b32 s39, 0xb8d23b76
	v_pk_add_f16 v43, v43, v82
	;; [unrolled: 5-line block ×5, first 2 shown]
	v_pk_fma_f16 v82, v60, s41, v59 op_sel_hi:[0,1,1] neg_lo:[1,0,0] neg_hi:[1,0,0]
	v_pk_mul_f16 v69, v69, s42 op_sel_hi:[0,1]
	s_mov_b32 s42, 0x3bf7bbb2
	v_pk_add_f16 v43, v43, v82
	v_pk_fma_f16 v82, v70, s42, v69 op_sel_hi:[0,1,1] neg_lo:[1,0,0] neg_hi:[1,0,0]
	v_pk_add_f16 v43, v43, v82
	v_mul_u32_u24_e32 v82, 34, v0
	v_add3_u32 v82, 0, v82, v1
	v_pk_fma_f16 v4, v7, s25, v4 op_sel_hi:[0,1,1]
	ds_write_b128 v82, v[40:43] offset:2
	v_pk_add_f16 v4, v6, v4 op_sel_hi:[0,1]
	v_pk_fma_f16 v40, v45, s36, v81 op_sel_hi:[0,1,1]
	v_pk_add_f16 v4, v4, v40
	v_pk_fma_f16 v40, v48, s37, v47 op_sel_hi:[0,1,1]
	v_pk_add_f16 v4, v4, v40
	;; [unrolled: 2-line block ×7, first 2 shown]
	v_pk_fma_f16 v40, v7, s26, v73 op_sel_hi:[0,1,1]
	v_pk_add_f16 v40, v6, v40 op_sel_hi:[0,1]
	v_pk_fma_f16 v41, v45, s29, v74 op_sel_hi:[0,1,1]
	v_pk_add_f16 v40, v40, v41
	v_pk_fma_f16 v41, v48, s28, v75 op_sel_hi:[0,1,1]
	v_pk_add_f16 v40, v40, v41
	;; [unrolled: 2-line block ×7, first 2 shown]
	v_alignbit_b32 v40, v4, v4, 16
	v_pk_fma_f16 v4, v7, s17, v62 op_sel_hi:[0,1,1]
	v_pk_add_f16 v4, v6, v4 op_sel_hi:[0,1]
	v_pk_fma_f16 v42, v45, s18, v63 op_sel_hi:[0,1,1]
	v_pk_add_f16 v4, v4, v42
	v_pk_fma_f16 v42, v48, s20, v64 op_sel_hi:[0,1,1]
	v_pk_add_f16 v4, v4, v42
	;; [unrolled: 2-line block ×7, first 2 shown]
	v_alignbit_b32 v42, v4, v4, 16
	v_pk_fma_f16 v4, v7, s6, v44 op_sel_hi:[0,1,1]
	v_pk_fma_f16 v7, v45, s7, v46 op_sel_hi:[0,1,1]
	v_pk_add_f16 v4, v6, v4 op_sel_hi:[0,1]
	v_pk_add_f16 v4, v4, v7
	v_pk_fma_f16 v7, v48, s10, v49 op_sel_hi:[0,1,1]
	v_pk_add_f16 v4, v4, v7
	v_pk_fma_f16 v7, v51, s11, v52 op_sel_hi:[0,1,1]
	;; [unrolled: 2-line block ×6, first 2 shown]
	v_pk_add_f16 v4, v4, v7
	v_alignbit_b32 v43, v4, v4, 16
	v_add_f16_e32 v4, v6, v8
	v_add_f16_e32 v4, v4, v9
	;; [unrolled: 1-line block ×15, first 2 shown]
	v_alignbit_b32 v41, v41, v41, 16
	v_add_f16_e32 v4, v31, v4
	ds_write_b128 v82, v[40:43] offset:18
	ds_write_b16 v82, v4
.LBB0_12:
	s_or_b64 exec, exec, s[4:5]
	v_lshlrev_b32_e32 v4, 1, v0
	v_add_u32_e32 v54, 0, v4
	v_add_u32_e32 v7, v54, v1
	s_waitcnt lgkmcnt(0)
	s_barrier
	v_add3_u32 v6, 0, v1, v4
	ds_read_u16 v46, v7 offset:1020
	ds_read_u16 v45, v7 offset:1190
	ds_read_u16 v43, v6
	ds_read_u16 v42, v7 offset:170
	ds_read_u16 v41, v7 offset:340
	;; [unrolled: 1-line block ×12, first 2 shown]
	s_waitcnt lgkmcnt(0)
	s_barrier
	s_and_saveexec_b64 s[4:5], s[2:3]
	s_cbranch_execz .LBB0_14
; %bb.13:
	v_sub_f16_e32 v31, v8, v31
	s_mov_b32 s3, 0xb964b5c8
	v_add_f16_e32 v55, v5, v19
	v_add_f16_e32 v19, v19, v39
	v_sub_f16_e32 v30, v9, v30
	s_mov_b32 s2, 0x39e93b76
	v_pk_mul_f16 v9, v31, s3 op_sel_hi:[0,1]
	s_mov_b32 s6, 0xbbf7b964
	v_add_f16_e32 v55, v55, v21
	v_add_f16_e32 v21, v21, v38
	v_sub_f16_e32 v26, v10, v26
	v_pk_fma_f16 v8, v19, s2, v9 op_sel_hi:[0,1,1]
	s_mov_b32 s3, 0x2de839e9
	v_pk_mul_f16 v10, v30, s6 op_sel_hi:[0,1]
	v_add_f16_e32 v55, v55, v23
	v_sub_f16_e32 v15, v15, v16
	v_pk_add_f16 v8, v5, v8 op_sel_hi:[0,1]
	v_pk_fma_f16 v16, v21, s3, v10 op_sel_hi:[0,1,1]
	s_mov_b32 s7, 0xba62bb29
	v_add_f16_e32 v55, v55, v24
	v_add_f16_e32 v23, v23, v37
	v_pk_add_f16 v8, v8, v16
	s_mov_b32 s6, 0xb8d23722
	v_pk_mul_f16 v16, v26, s7 op_sel_hi:[0,1]
	v_add_f16_e32 v55, v55, v25
	v_sub_f16_e32 v11, v11, v22
	v_add_f16_e32 v22, v25, v35
	v_pk_fma_f16 v25, v23, s6, v16 op_sel_hi:[0,1,1]
	s_mov_b32 s10, 0xb1e1bbf7
	v_add_f16_e32 v24, v24, v36
	v_pk_add_f16 v8, v8, v25
	s_mov_b32 s7, 0xbbdd2de8
	v_pk_mul_f16 v25, v11, s10 op_sel_hi:[0,1]
	v_add_f16_e32 v55, v55, v27
	v_sub_f16_e32 v12, v12, v20
	v_add_f16_e32 v20, v27, v34
	v_pk_fma_f16 v27, v24, s7, v25 op_sel_hi:[0,1,1]
	s_mov_b32 s11, 0x3836bbb2
	v_pk_add_f16 v8, v8, v27
	s_mov_b32 s10, 0xbacdb461
	v_pk_mul_f16 v27, v12, s11 op_sel_hi:[0,1]
	v_pk_fma_f16 v9, v19, s2, v9 op_sel_hi:[0,1,1] neg_lo:[0,0,1] neg_hi:[0,0,1]
	v_add_f16_e32 v55, v55, v28
	v_sub_f16_e32 v13, v13, v18
	v_add_f16_e32 v18, v28, v33
	v_pk_fma_f16 v28, v22, s10, v27 op_sel_hi:[0,1,1]
	s_mov_b32 s14, 0x3bb2ba62
	v_pk_add_f16 v9, v5, v9 op_sel_hi:[0,1]
	v_pk_fma_f16 v10, v21, s3, v10 op_sel_hi:[0,1,1] neg_lo:[0,0,1] neg_hi:[0,0,1]
	v_pk_add_f16 v8, v8, v28
	s_mov_b32 s11, 0xb461b8d2
	v_pk_mul_f16 v28, v13, s14 op_sel_hi:[0,1]
	v_pk_add_f16 v9, v9, v10
	v_pk_fma_f16 v10, v23, s6, v16 op_sel_hi:[0,1,1] neg_lo:[0,0,1] neg_hi:[0,0,1]
	v_add_f16_e32 v55, v55, v29
	v_sub_f16_e32 v14, v14, v17
	v_add_f16_e32 v17, v29, v32
	v_pk_fma_f16 v29, v20, s11, v28 op_sel_hi:[0,1,1]
	s_mov_b32 s15, 0x3b29b836
	v_pk_add_f16 v9, v9, v10
	v_pk_fma_f16 v10, v24, s7, v25 op_sel_hi:[0,1,1] neg_lo:[0,0,1] neg_hi:[0,0,1]
	v_pk_add_f16 v8, v8, v29
	s_mov_b32 s14, 0x3722bacd
	v_pk_mul_f16 v29, v14, s15 op_sel_hi:[0,1]
	v_pk_add_f16 v9, v9, v10
	v_pk_fma_f16 v10, v22, s10, v27 op_sel_hi:[0,1,1] neg_lo:[0,0,1] neg_hi:[0,0,1]
	v_add_f16_e32 v55, v55, v32
	v_pk_fma_f16 v32, v18, s14, v29 op_sel_hi:[0,1,1]
	s_mov_b32 s16, 0x35c8b1e1
	v_pk_add_f16 v9, v9, v10
	v_pk_fma_f16 v10, v20, s11, v28 op_sel_hi:[0,1,1] neg_lo:[0,0,1] neg_hi:[0,0,1]
	v_pk_add_f16 v8, v8, v32
	s_mov_b32 s15, 0x3b76bbdd
	v_pk_mul_f16 v32, v15, s16 op_sel_hi:[0,1]
	v_pk_add_f16 v9, v9, v10
	v_pk_fma_f16 v10, v18, s14, v29 op_sel_hi:[0,1,1] neg_lo:[0,0,1] neg_hi:[0,0,1]
	v_pk_add_f16 v9, v9, v10
	v_pk_fma_f16 v10, v17, s15, v32 op_sel_hi:[0,1,1] neg_lo:[0,0,1] neg_hi:[0,0,1]
	s_mov_b32 s3, 0xbbf7bb29
	v_pk_add_f16 v16, v9, v10
	s_mov_b32 s2, 0x2de83722
	v_pk_mul_f16 v10, v31, s3 op_sel_hi:[0,1]
	s_mov_b32 s6, 0xb1e1ba62
	v_pk_fma_f16 v9, v19, s2, v10 op_sel_hi:[0,1,1]
	s_mov_b32 s3, 0xbbddb8d2
	v_pk_mul_f16 v25, v30, s6 op_sel_hi:[0,1]
	v_pk_add_f16 v9, v5, v9 op_sel_hi:[0,1]
	v_pk_fma_f16 v27, v21, s3, v25 op_sel_hi:[0,1,1]
	s_mov_b32 s7, 0x3bb231e1
	v_pk_add_f16 v9, v9, v27
	s_mov_b32 s6, 0xb461bbdd
	v_pk_mul_f16 v27, v26, s7 op_sel_hi:[0,1]
	v_pk_fma_f16 v28, v23, s6, v27 op_sel_hi:[0,1,1]
	s_mov_b32 s10, 0x35c83bb2
	v_pk_add_f16 v9, v9, v28
	s_mov_b32 s7, 0x3b76b461
	v_pk_mul_f16 v28, v11, s10 op_sel_hi:[0,1]
	;; [unrolled: 5-line block ×3, first 2 shown]
	v_pk_fma_f16 v10, v19, s2, v10 op_sel_hi:[0,1,1] neg_lo:[0,0,1] neg_hi:[0,0,1]
	v_add_f16_e32 v55, v33, v55
	v_pk_fma_f16 v33, v17, s15, v32 op_sel_hi:[0,1,1]
	v_pk_fma_f16 v32, v22, s10, v29 op_sel_hi:[0,1,1]
	s_mov_b32 s14, 0xb836b5c8
	v_pk_add_f16 v10, v5, v10 op_sel_hi:[0,1]
	v_pk_fma_f16 v25, v21, s3, v25 op_sel_hi:[0,1,1] neg_lo:[0,0,1] neg_hi:[0,0,1]
	v_pk_add_f16 v9, v9, v32
	s_mov_b32 s11, 0xbacd3b76
	v_pk_mul_f16 v32, v13, s14 op_sel_hi:[0,1]
	v_pk_add_f16 v10, v10, v25
	v_pk_fma_f16 v25, v23, s6, v27 op_sel_hi:[0,1,1] neg_lo:[0,0,1] neg_hi:[0,0,1]
	v_pk_add_f16 v8, v8, v33
	v_pk_fma_f16 v33, v20, s11, v32 op_sel_hi:[0,1,1]
	s_mov_b32 s15, 0x3a62bbf7
	v_pk_add_f16 v10, v10, v25
	v_pk_fma_f16 v25, v24, s7, v28 op_sel_hi:[0,1,1] neg_lo:[0,0,1] neg_hi:[0,0,1]
	v_pk_add_f16 v9, v9, v33
	s_mov_b32 s14, 0xb8d22de8
	v_pk_mul_f16 v33, v14, s15 op_sel_hi:[0,1]
	v_pk_add_f16 v10, v10, v25
	v_pk_fma_f16 v25, v22, s10, v29 op_sel_hi:[0,1,1] neg_lo:[0,0,1] neg_hi:[0,0,1]
	v_add_f16_e32 v55, v34, v55
	v_pk_fma_f16 v34, v18, s14, v33 op_sel_hi:[0,1,1]
	s_mov_b32 s16, 0x3964b836
	v_pk_add_f16 v10, v10, v25
	v_pk_fma_f16 v25, v20, s11, v32 op_sel_hi:[0,1,1] neg_lo:[0,0,1] neg_hi:[0,0,1]
	v_pk_add_f16 v9, v9, v34
	s_mov_b32 s15, 0x39e9bacd
	v_pk_mul_f16 v34, v15, s16 op_sel_hi:[0,1]
	v_pk_add_f16 v10, v10, v25
	v_pk_fma_f16 v25, v18, s14, v33 op_sel_hi:[0,1,1] neg_lo:[0,0,1] neg_hi:[0,0,1]
	s_mov_b32 s3, 0xba62bbb2
	v_pk_add_f16 v10, v10, v25
	v_pk_fma_f16 v25, v17, s15, v34 op_sel_hi:[0,1,1] neg_lo:[0,0,1] neg_hi:[0,0,1]
	s_mov_b32 s2, 0xb8d2b461
	v_pk_mul_f16 v27, v31, s3 op_sel_hi:[0,1]
	s_mov_b32 s6, 0x3bb23836
	v_pk_add_f16 v25, v10, v25
	v_pk_fma_f16 v10, v19, s2, v27 op_sel_hi:[0,1,1]
	s_mov_b32 s3, 0xb461bacd
	v_pk_mul_f16 v28, v30, s6 op_sel_hi:[0,1]
	v_pk_add_f16 v10, v5, v10 op_sel_hi:[0,1]
	v_pk_fma_f16 v29, v21, s3, v28 op_sel_hi:[0,1,1]
	s_mov_b32 s7, 0xb5c83964
	v_pk_add_f16 v10, v10, v29
	s_mov_b32 s6, 0x3b7639e9
	v_pk_mul_f16 v29, v26, s7 op_sel_hi:[0,1]
	v_pk_fma_f16 v32, v23, s6, v29 op_sel_hi:[0,1,1]
	s_mov_b32 s10, 0xb836bb29
	v_pk_add_f16 v10, v10, v32
	s_mov_b32 s7, 0xbacd3722
	v_pk_mul_f16 v32, v11, s10 op_sel_hi:[0,1]
	;; [unrolled: 5-line block ×3, first 2 shown]
	v_pk_fma_f16 v27, v19, s2, v27 op_sel_hi:[0,1,1] neg_lo:[0,0,1] neg_hi:[0,0,1]
	v_add_f16_e32 v55, v35, v55
	v_pk_fma_f16 v35, v17, s15, v34 op_sel_hi:[0,1,1]
	v_pk_fma_f16 v34, v22, s10, v33 op_sel_hi:[0,1,1]
	s_mov_b32 s14, 0xb9643bf7
	v_pk_add_f16 v27, v5, v27 op_sel_hi:[0,1]
	v_pk_fma_f16 v28, v21, s3, v28 op_sel_hi:[0,1,1] neg_lo:[0,0,1] neg_hi:[0,0,1]
	v_pk_add_f16 v10, v10, v34
	s_mov_b32 s11, 0x39e92de8
	v_pk_mul_f16 v34, v13, s14 op_sel_hi:[0,1]
	v_pk_add_f16 v27, v27, v28
	v_pk_fma_f16 v28, v23, s6, v29 op_sel_hi:[0,1,1] neg_lo:[0,0,1] neg_hi:[0,0,1]
	v_pk_add_f16 v9, v9, v35
	v_pk_fma_f16 v35, v20, s11, v34 op_sel_hi:[0,1,1]
	s_mov_b32 s15, 0xb1e1b5c8
	v_pk_add_f16 v27, v27, v28
	v_pk_fma_f16 v28, v24, s7, v32 op_sel_hi:[0,1,1] neg_lo:[0,0,1] neg_hi:[0,0,1]
	v_pk_add_f16 v10, v10, v35
	s_mov_b32 s14, 0xbbdd3b76
	v_pk_mul_f16 v35, v14, s15 op_sel_hi:[0,1]
	v_pk_add_f16 v27, v27, v28
	v_pk_fma_f16 v28, v22, s10, v33 op_sel_hi:[0,1,1] neg_lo:[0,0,1] neg_hi:[0,0,1]
	v_add_f16_e32 v55, v36, v55
	v_pk_fma_f16 v36, v18, s14, v35 op_sel_hi:[0,1,1]
	s_mov_b32 s16, 0x3b29ba62
	v_pk_add_f16 v27, v27, v28
	v_pk_fma_f16 v28, v20, s11, v34 op_sel_hi:[0,1,1] neg_lo:[0,0,1] neg_hi:[0,0,1]
	v_pk_add_f16 v10, v10, v36
	s_mov_b32 s15, 0x3722b8d2
	v_pk_mul_f16 v36, v15, s16 op_sel_hi:[0,1]
	v_pk_add_f16 v27, v27, v28
	v_pk_fma_f16 v28, v18, s14, v35 op_sel_hi:[0,1,1] neg_lo:[0,0,1] neg_hi:[0,0,1]
	v_pk_add_f16 v27, v27, v28
	v_pk_fma_f16 v28, v17, s15, v36 op_sel_hi:[0,1,1] neg_lo:[0,0,1] neg_hi:[0,0,1]
	s_mov_b32 s3, 0xb1e1b836
	v_pk_add_f16 v27, v27, v28
	s_mov_b32 s2, 0xbbddbacd
	v_pk_mul_f16 v28, v31, s3 op_sel_hi:[0,1]
	s_mov_b32 s6, 0x35c83b29
	v_pk_fma_f16 v29, v19, s2, v28 op_sel_hi:[0,1,1]
	s_mov_b32 s3, 0x3b763722
	v_pk_mul_f16 v30, v30, s6 op_sel_hi:[0,1]
	s_mov_b32 s7, 0xb836bbf7
	v_pk_add_f16 v29, v5, v29 op_sel_hi:[0,1]
	v_pk_fma_f16 v31, v21, s3, v30 op_sel_hi:[0,1,1]
	s_mov_b32 s6, 0xbacd2de8
	v_pk_mul_f16 v26, v26, s7 op_sel_hi:[0,1]
	v_pk_fma_f16 v19, v19, s2, v28 op_sel_hi:[0,1,1] neg_lo:[0,0,1] neg_hi:[0,0,1]
	v_pk_add_f16 v29, v29, v31
	v_pk_fma_f16 v31, v23, s6, v26 op_sel_hi:[0,1,1]
	s_mov_b32 s10, 0x39643a62
	v_pk_add_f16 v5, v5, v19 op_sel_hi:[0,1]
	v_pk_fma_f16 v19, v21, s3, v30 op_sel_hi:[0,1,1] neg_lo:[0,0,1] neg_hi:[0,0,1]
	v_pk_add_f16 v29, v29, v31
	s_mov_b32 s7, 0x39e9b8d2
	v_pk_mul_f16 v31, v11, s10 op_sel_hi:[0,1]
	s_mov_b32 s11, 0xba62b5c8
	v_pk_add_f16 v5, v5, v19
	v_pk_fma_f16 v19, v23, s6, v26 op_sel_hi:[0,1,1] neg_lo:[0,0,1] neg_hi:[0,0,1]
	v_pk_fma_f16 v11, v24, s7, v31 op_sel_hi:[0,1,1]
	s_mov_b32 s10, 0xb8d23b76
	v_pk_mul_f16 v12, v12, s11 op_sel_hi:[0,1]
	s_mov_b32 s14, 0x3b29b1e1
	v_pk_add_f16 v5, v5, v19
	v_pk_fma_f16 v19, v24, s7, v31 op_sel_hi:[0,1,1] neg_lo:[0,0,1] neg_hi:[0,0,1]
	v_add_f16_e32 v55, v37, v55
	v_pk_fma_f16 v37, v17, s15, v36 op_sel_hi:[0,1,1]
	v_pk_add_f16 v11, v29, v11
	v_pk_fma_f16 v29, v22, s10, v12 op_sel_hi:[0,1,1]
	s_mov_b32 s11, 0x3722bbdd
	v_pk_mul_f16 v13, v13, s14 op_sel_hi:[0,1]
	s_mov_b32 s15, 0xbbb23964
	v_pk_add_f16 v5, v5, v19
	v_pk_fma_f16 v12, v22, s10, v12 op_sel_hi:[0,1,1] neg_lo:[0,0,1] neg_hi:[0,0,1]
	s_mov_b32 s14, 0xb46139e9
	v_pk_mul_f16 v14, v14, s15 op_sel_hi:[0,1]
	s_mov_b32 s16, 0x3bf7bbb2
	v_pk_add_f16 v5, v5, v12
	v_pk_fma_f16 v12, v20, s11, v13 op_sel_hi:[0,1,1] neg_lo:[0,0,1] neg_hi:[0,0,1]
	v_pk_add_f16 v11, v11, v29
	v_pk_fma_f16 v29, v20, s11, v13 op_sel_hi:[0,1,1]
	s_mov_b32 s15, 0x2de8b461
	v_pk_mul_f16 v15, v15, s16 op_sel_hi:[0,1]
	v_pk_add_f16 v5, v5, v12
	v_pk_fma_f16 v12, v18, s14, v14 op_sel_hi:[0,1,1] neg_lo:[0,0,1] neg_hi:[0,0,1]
	v_pk_add_f16 v11, v11, v29
	v_pk_fma_f16 v29, v18, s14, v14 op_sel_hi:[0,1,1]
	v_pk_add_f16 v5, v5, v12
	v_pk_fma_f16 v12, v17, s15, v15 op_sel_hi:[0,1,1] neg_lo:[0,0,1] neg_hi:[0,0,1]
	v_add_f16_e32 v55, v38, v55
	v_pk_add_f16 v11, v11, v29
	v_pk_fma_f16 v29, v17, s15, v15 op_sel_hi:[0,1,1]
	v_pk_add_f16 v5, v5, v12
	v_lshlrev_b32_e32 v12, 5, v0
	v_add_f16_e32 v55, v39, v55
	v_pk_add_f16 v10, v10, v37
	v_pk_add_f16 v11, v11, v29
	v_add3_u32 v12, v54, v12, v1
	ds_write_b16 v12, v55
	ds_write_b128 v12, v[8:11] offset:2
	v_alignbit_b32 v8, v5, v5, 16
	v_alignbit_b32 v9, v27, v27, 16
	;; [unrolled: 1-line block ×4, first 2 shown]
	ds_write_b128 v12, v[8:11] offset:18
.LBB0_14:
	s_or_b64 exec, exec, s[4:5]
	v_add_u32_e32 v9, 0x55, v0
	s_movk_i32 s2, 0xf1
	v_mul_lo_u16_sdwa v12, v9, s2 dst_sel:DWORD dst_unused:UNUSED_PAD src0_sel:BYTE_0 src1_sel:DWORD
	v_lshrrev_b16_e32 v23, 12, v12
	v_add_u32_e32 v8, 0xaa, v0
	v_mul_lo_u16_e32 v12, 17, v23
	v_mul_lo_u16_sdwa v10, v0, s2 dst_sel:DWORD dst_unused:UNUSED_PAD src0_sel:BYTE_0 src1_sel:DWORD
	v_sub_u16_e32 v24, v9, v12
	v_mul_lo_u16_sdwa v12, v8, s2 dst_sel:DWORD dst_unused:UNUSED_PAD src0_sel:BYTE_0 src1_sel:DWORD
	v_lshrrev_b16_e32 v21, 12, v10
	v_lshrrev_b16_e32 v25, 12, v12
	v_add_u32_e32 v5, 0xff, v0
	v_mul_lo_u16_e32 v10, 17, v21
	v_mul_lo_u16_e32 v14, 17, v25
	s_mov_b32 s2, 0xf0f1
	v_sub_u16_e32 v22, v0, v10
	v_mov_b32_e32 v10, 3
	v_sub_u16_e32 v26, v8, v14
	v_mul_u32_u24_sdwa v15, v5, s2 dst_sel:DWORD dst_unused:UNUSED_PAD src0_sel:WORD_0 src1_sel:DWORD
	v_lshlrev_b32_sdwa v11, v10, v22 dst_sel:DWORD dst_unused:UNUSED_PAD src0_sel:DWORD src1_sel:BYTE_0
	v_lshlrev_b32_sdwa v13, v10, v24 dst_sel:DWORD dst_unused:UNUSED_PAD src0_sel:DWORD src1_sel:BYTE_0
	v_lshlrev_b32_sdwa v10, v10, v26 dst_sel:DWORD dst_unused:UNUSED_PAD src0_sel:DWORD src1_sel:BYTE_0
	v_lshrrev_b32_e32 v27, 20, v15
	s_waitcnt lgkmcnt(0)
	s_barrier
	global_load_dwordx2 v[11:12], v11, s[8:9]
	s_mov_b32 s3, 0xbaee
	global_load_dwordx2 v[15:16], v10, s[8:9]
	v_mul_lo_u16_e32 v10, 17, v27
	v_sub_u16_e32 v5, v5, v10
	v_lshlrev_b32_e32 v10, 3, v5
	global_load_dwordx2 v[13:14], v13, s[8:9]
	v_lshlrev_b32_e32 v5, 1, v5
	global_load_dwordx2 v[17:18], v10, s[8:9]
	v_add_u32_e32 v10, 0x154, v0
	v_mul_u32_u24_sdwa v19, v10, s2 dst_sel:DWORD dst_unused:UNUSED_PAD src0_sel:WORD_0 src1_sel:DWORD
	v_lshrrev_b32_e32 v28, 20, v19
	v_mul_lo_u16_e32 v19, 17, v28
	v_sub_u16_e32 v29, v10, v19
	v_lshlrev_b32_e32 v10, 3, v29
	global_load_dwordx2 v[19:20], v10, s[8:9]
	ds_read_u16 v30, v7 offset:1020
	ds_read_u16 v31, v7 offset:1190
	ds_read_u16 v32, v6
	ds_read_u16 v33, v7 offset:170
	ds_read_u16 v34, v7 offset:340
	;; [unrolled: 1-line block ×12, first 2 shown]
	s_movk_i32 s2, 0x3aee
	v_mov_b32_e32 v10, 1
	v_lshlrev_b32_sdwa v22, v10, v22 dst_sel:DWORD dst_unused:UNUSED_PAD src0_sel:DWORD src1_sel:BYTE_0
	v_lshlrev_b32_sdwa v24, v10, v24 dst_sel:DWORD dst_unused:UNUSED_PAD src0_sel:DWORD src1_sel:BYTE_0
	;; [unrolled: 1-line block ×3, first 2 shown]
	s_waitcnt vmcnt(0) lgkmcnt(0)
	s_barrier
	v_lshlrev_b32_e32 v29, 1, v29
	v_cmp_gt_u32_e32 vcc, 51, v0
	s_mov_b32 s6, 0xbb9c
	s_movk_i32 s4, 0x38b4
	s_mov_b32 s7, 0xb8b4
	s_movk_i32 s5, 0x34f2
	s_movk_i32 s10, 0x1fe
	v_mul_f16_sdwa v59, v37, v11 dst_sel:DWORD dst_unused:UNUSED_PAD src0_sel:DWORD src1_sel:WORD_1
	v_mul_f16_sdwa v60, v52, v11 dst_sel:DWORD dst_unused:UNUSED_PAD src0_sel:DWORD src1_sel:WORD_1
	;; [unrolled: 1-line block ×12, first 2 shown]
	v_fma_f16 v46, v46, v13, -v63
	v_fma_f16 v13, v30, v13, v64
	v_fma_f16 v30, v51, v14, -v65
	v_fma_f16 v14, v39, v14, v66
	v_fma_f16 v39, v45, v15, -v67
	v_fma_f16 v45, v47, v17, -v71
	v_fma_f16 v17, v36, v17, v72
	v_mul_f16_sdwa v36, v55, v18 dst_sel:DWORD dst_unused:UNUSED_PAD src0_sel:DWORD src1_sel:WORD_1
	v_mul_f16_sdwa v47, v49, v18 dst_sel:DWORD dst_unused:UNUSED_PAD src0_sel:DWORD src1_sel:WORD_1
	v_fma_f16 v36, v49, v18, -v36
	v_fma_f16 v18, v55, v18, v47
	v_mul_f16_sdwa v47, v58, v19 dst_sel:DWORD dst_unused:UNUSED_PAD src0_sel:DWORD src1_sel:WORD_1
	v_fma_f16 v47, v48, v19, -v47
	v_mul_f16_sdwa v48, v48, v19 dst_sel:DWORD dst_unused:UNUSED_PAD src0_sel:DWORD src1_sel:WORD_1
	v_fma_f16 v52, v52, v11, -v59
	v_fma_f16 v11, v37, v11, v60
	v_fma_f16 v37, v53, v12, -v61
	v_fma_f16 v19, v58, v19, v48
	v_mul_f16_sdwa v48, v56, v20 dst_sel:DWORD dst_unused:UNUSED_PAD src0_sel:DWORD src1_sel:WORD_1
	v_fma_f16 v12, v57, v12, v62
	v_fma_f16 v48, v44, v20, -v48
	v_mul_f16_sdwa v44, v44, v20 dst_sel:DWORD dst_unused:UNUSED_PAD src0_sel:DWORD src1_sel:WORD_1
	v_add_f16_e32 v49, v52, v37
	v_mul_f16_sdwa v69, v54, v16 dst_sel:DWORD dst_unused:UNUSED_PAD src0_sel:DWORD src1_sel:WORD_1
	v_fma_f16 v20, v56, v20, v44
	v_add_f16_e32 v44, v43, v52
	v_fma_f16 v43, v49, -0.5, v43
	v_sub_f16_e32 v49, v11, v12
	v_mul_f16_sdwa v70, v50, v16 dst_sel:DWORD dst_unused:UNUSED_PAD src0_sel:DWORD src1_sel:WORD_1
	v_fma_f16 v15, v31, v15, v68
	v_fma_f16 v31, v50, v16, -v69
	v_fma_f16 v50, v49, s2, v43
	v_fma_f16 v43, v49, s3, v43
	v_add_f16_e32 v49, v32, v11
	v_add_f16_e32 v11, v11, v12
	;; [unrolled: 1-line block ×4, first 2 shown]
	v_fma_f16 v11, v11, -0.5, v32
	v_sub_f16_e32 v12, v52, v37
	v_add_f16_e32 v37, v46, v30
	v_fma_f16 v32, v12, s3, v11
	v_fma_f16 v11, v12, s2, v11
	v_add_f16_e32 v12, v42, v46
	v_fma_f16 v37, v37, -0.5, v42
	v_sub_f16_e32 v42, v13, v14
	v_fma_f16 v51, v42, s2, v37
	v_fma_f16 v37, v42, s3, v37
	v_add_f16_e32 v42, v33, v13
	v_add_f16_e32 v13, v13, v14
	v_fma_f16 v16, v54, v16, v70
	v_add_f16_e32 v42, v42, v14
	v_fma_f16 v13, v13, -0.5, v33
	v_sub_f16_e32 v14, v46, v30
	v_add_f16_e32 v33, v39, v31
	v_add_f16_e32 v12, v12, v30
	v_fma_f16 v30, v14, s3, v13
	v_fma_f16 v13, v14, s2, v13
	v_add_f16_e32 v14, v41, v39
	v_fma_f16 v33, v33, -0.5, v41
	v_sub_f16_e32 v41, v15, v16
	v_fma_f16 v46, v41, s2, v33
	v_fma_f16 v33, v41, s3, v33
	v_add_f16_e32 v41, v34, v15
	v_add_f16_e32 v15, v15, v16
	v_fma_f16 v15, v15, -0.5, v34
	v_add_f16_e32 v34, v45, v36
	v_add_f16_e32 v41, v41, v16
	v_sub_f16_e32 v16, v39, v31
	v_fma_f16 v34, v34, -0.5, v40
	v_sub_f16_e32 v39, v17, v18
	v_add_f16_e32 v14, v14, v31
	v_fma_f16 v31, v16, s3, v15
	v_fma_f16 v15, v16, s2, v15
	v_add_f16_e32 v16, v40, v45
	v_fma_f16 v40, v39, s2, v34
	v_fma_f16 v34, v39, s3, v34
	v_add_f16_e32 v39, v35, v17
	v_add_f16_e32 v17, v17, v18
	;; [unrolled: 1-line block ×4, first 2 shown]
	v_fma_f16 v17, v17, -0.5, v35
	v_sub_f16_e32 v18, v45, v36
	v_add_f16_e32 v36, v47, v48
	v_fma_f16 v35, v18, s3, v17
	v_fma_f16 v17, v18, s2, v17
	v_add_f16_e32 v18, v4, v47
	v_fma_f16 v4, v36, -0.5, v4
	v_sub_f16_e32 v36, v19, v20
	v_fma_f16 v45, v36, s2, v4
	v_fma_f16 v4, v36, s3, v4
	v_add_f16_e32 v36, v38, v19
	v_add_f16_e32 v19, v19, v20
	v_add_f16_e32 v36, v36, v20
	v_fma_f16 v19, v19, -0.5, v38
	v_sub_f16_e32 v20, v47, v48
	v_fma_f16 v38, v20, s3, v19
	v_fma_f16 v19, v20, s2, v19
	s_movk_i32 s2, 0x66
	v_mad_u32_u24 v20, v21, s2, 0
	v_mad_u32_u24 v21, v23, s2, 0
	v_add3_u32 v20, v20, v22, v1
	v_add3_u32 v21, v21, v24, v1
	ds_write_b16 v20, v44
	ds_write_b16 v20, v50 offset:34
	ds_write_b16 v20, v43 offset:68
	ds_write_b16 v21, v12
	ds_write_b16 v21, v51 offset:34
	ds_write_b16 v21, v37 offset:68
	v_mad_u32_u24 v12, v25, s2, 0
	v_add3_u32 v12, v12, v26, v1
	ds_write_b16 v12, v14
	ds_write_b16 v12, v46 offset:34
	ds_write_b16 v12, v33 offset:68
	v_mad_u32_u24 v14, v27, s2, 0
	v_add3_u32 v5, v14, v5, v1
	v_mad_u32_u24 v14, v28, s2, 0
	v_add_f16_e32 v18, v18, v48
	v_add3_u32 v14, v14, v29, v1
	ds_write_b16 v5, v16
	ds_write_b16 v5, v40 offset:34
	ds_write_b16 v5, v34 offset:68
	ds_write_b16 v14, v18
	ds_write_b16 v14, v45 offset:34
	ds_write_b16 v14, v4 offset:68
	v_subrev_u32_e32 v4, 51, v0
	s_waitcnt lgkmcnt(0)
	s_barrier
	ds_read_u16 v23, v6
	ds_read_u16 v24, v7 offset:170
	ds_read_u16 v25, v7 offset:680
	;; [unrolled: 1-line block ×14, first 2 shown]
	s_waitcnt lgkmcnt(0)
	s_barrier
	ds_write_b16 v20, v49
	ds_write_b16 v20, v32 offset:34
	ds_write_b16 v20, v11 offset:68
	ds_write_b16 v21, v42
	ds_write_b16 v21, v30 offset:34
	ds_write_b16 v21, v13 offset:68
	;; [unrolled: 3-line block ×5, first 2 shown]
	v_cndmask_b32_e32 v30, v4, v0, vcc
	v_lshlrev_b32_e32 v4, 2, v30
	v_mov_b32_e32 v5, 0
	v_lshlrev_b64 v[11:12], 2, v[4:5]
	v_mov_b32_e32 v4, s9
	v_add_co_u32_e32 v11, vcc, s8, v11
	v_addc_co_u32_e32 v12, vcc, v4, v12, vcc
	s_waitcnt lgkmcnt(0)
	s_barrier
	global_load_dwordx4 v[11:14], v[11:12], off offset:136
	s_movk_i32 s2, 0xa1
	v_mul_lo_u16_sdwa v4, v9, s2 dst_sel:DWORD dst_unused:UNUSED_PAD src0_sel:BYTE_0 src1_sel:DWORD
	v_lshrrev_b16_e32 v4, 13, v4
	v_mul_lo_u16_e32 v15, 51, v4
	v_sub_u16_e32 v31, v9, v15
	v_mov_b32_e32 v19, 4
	v_lshlrev_b32_sdwa v15, v19, v31 dst_sel:DWORD dst_unused:UNUSED_PAD src0_sel:DWORD src1_sel:BYTE_0
	global_load_dwordx4 v[15:18], v15, s[8:9] offset:136
	v_mul_lo_u16_sdwa v20, v8, s2 dst_sel:DWORD dst_unused:UNUSED_PAD src0_sel:BYTE_0 src1_sel:DWORD
	v_lshrrev_b16_e32 v32, 13, v20
	v_mul_lo_u16_e32 v20, 51, v32
	v_sub_u16_e32 v35, v8, v20
	v_lshlrev_b32_sdwa v19, v19, v35 dst_sel:DWORD dst_unused:UNUSED_PAD src0_sel:DWORD src1_sel:BYTE_0
	global_load_dwordx4 v[19:22], v19, s[8:9] offset:136
	ds_read_u16 v36, v6
	ds_read_u16 v38, v7 offset:170
	ds_read_u16 v39, v7 offset:680
	;; [unrolled: 1-line block ×14, first 2 shown]
	s_movk_i32 s3, 0x3b9c
	v_cmp_lt_u32_e32 vcc, 50, v0
	v_mad_u32_u24 v4, v4, s10, 0
	s_waitcnt vmcnt(0) lgkmcnt(0)
	s_barrier
	s_movk_i32 s2, 0x154
	v_mul_f16_sdwa v57, v49, v11 dst_sel:DWORD dst_unused:UNUSED_PAD src0_sel:DWORD src1_sel:WORD_1
	v_fma_f16 v57, v33, v11, -v57
	v_mul_f16_sdwa v33, v33, v11 dst_sel:DWORD dst_unused:UNUSED_PAD src0_sel:DWORD src1_sel:WORD_1
	v_fma_f16 v11, v49, v11, v33
	v_mul_f16_sdwa v33, v47, v12 dst_sel:DWORD dst_unused:UNUSED_PAD src0_sel:DWORD src1_sel:WORD_1
	v_fma_f16 v33, v28, v12, -v33
	v_mul_f16_sdwa v28, v28, v12 dst_sel:DWORD dst_unused:UNUSED_PAD src0_sel:DWORD src1_sel:WORD_1
	v_fma_f16 v12, v47, v12, v28
	;; [unrolled: 4-line block ×9, first 2 shown]
	v_mul_f16_sdwa v29, v56, v20 dst_sel:DWORD dst_unused:UNUSED_PAD src0_sel:DWORD src1_sel:WORD_1
	v_mul_f16_sdwa v39, v46, v20 dst_sel:DWORD dst_unused:UNUSED_PAD src0_sel:DWORD src1_sel:WORD_1
	v_fma_f16 v29, v46, v20, -v29
	v_fma_f16 v20, v56, v20, v39
	v_mul_f16_sdwa v39, v54, v21 dst_sel:DWORD dst_unused:UNUSED_PAD src0_sel:DWORD src1_sel:WORD_1
	v_add_f16_e32 v42, v33, v28
	v_fma_f16 v39, v44, v21, -v39
	v_mul_f16_sdwa v41, v44, v21 dst_sel:DWORD dst_unused:UNUSED_PAD src0_sel:DWORD src1_sel:WORD_1
	v_fma_f16 v42, v42, -0.5, v23
	v_sub_f16_e32 v44, v11, v14
	v_fma_f16 v21, v54, v21, v41
	v_mul_f16_sdwa v41, v52, v22 dst_sel:DWORD dst_unused:UNUSED_PAD src0_sel:DWORD src1_sel:WORD_1
	v_fma_f16 v46, v44, s3, v42
	v_sub_f16_e32 v47, v12, v13
	v_sub_f16_e32 v48, v57, v33
	;; [unrolled: 1-line block ×3, first 2 shown]
	v_fma_f16 v42, v44, s6, v42
	v_fma_f16 v41, v40, v22, -v41
	v_mul_f16_sdwa v40, v40, v22 dst_sel:DWORD dst_unused:UNUSED_PAD src0_sel:DWORD src1_sel:WORD_1
	v_fma_f16 v46, v47, s4, v46
	v_add_f16_e32 v48, v48, v49
	v_fma_f16 v42, v47, s7, v42
	v_fma_f16 v22, v52, v22, v40
	v_add_f16_e32 v40, v23, v57
	v_fma_f16 v46, v48, s5, v46
	v_fma_f16 v42, v48, s5, v42
	v_add_f16_e32 v48, v57, v45
	v_add_f16_e32 v40, v40, v33
	v_fma_f16 v23, v48, -0.5, v23
	v_add_f16_e32 v40, v40, v28
	v_fma_f16 v48, v47, s6, v23
	v_sub_f16_e32 v49, v33, v57
	v_sub_f16_e32 v51, v28, v45
	v_fma_f16 v23, v47, s3, v23
	v_add_f16_e32 v47, v12, v13
	v_add_f16_e32 v40, v40, v45
	v_fma_f16 v48, v44, s4, v48
	v_add_f16_e32 v49, v49, v51
	v_fma_f16 v23, v44, s7, v23
	v_fma_f16 v47, v47, -0.5, v36
	v_sub_f16_e32 v45, v57, v45
	v_fma_f16 v48, v49, s5, v48
	v_fma_f16 v23, v49, s5, v23
	;; [unrolled: 1-line block ×3, first 2 shown]
	v_sub_f16_e32 v28, v33, v28
	v_fma_f16 v33, v28, s7, v49
	v_sub_f16_e32 v49, v11, v12
	v_sub_f16_e32 v51, v14, v13
	v_fma_f16 v47, v45, s3, v47
	v_add_f16_e32 v49, v49, v51
	v_fma_f16 v47, v28, s4, v47
	v_add_f16_e32 v44, v36, v11
	v_fma_f16 v33, v49, s5, v33
	v_fma_f16 v47, v49, s5, v47
	v_add_f16_e32 v49, v11, v14
	v_add_f16_e32 v44, v44, v12
	v_fma_f16 v36, v49, -0.5, v36
	v_sub_f16_e32 v11, v12, v11
	v_sub_f16_e32 v12, v13, v14
	v_add_f16_e32 v11, v11, v12
	v_fma_f16 v12, v28, s6, v36
	v_fma_f16 v12, v45, s4, v12
	v_fma_f16 v49, v28, s3, v36
	v_fma_f16 v28, v11, s5, v12
	v_add_f16_e32 v12, v25, v26
	v_add_f16_e32 v44, v44, v13
	v_fma_f16 v12, v12, -0.5, v24
	v_sub_f16_e32 v13, v15, v18
	v_add_f16_e32 v44, v44, v14
	v_fma_f16 v49, v45, s7, v49
	v_fma_f16 v14, v13, s3, v12
	v_sub_f16_e32 v36, v16, v17
	v_sub_f16_e32 v45, v43, v25
	;; [unrolled: 1-line block ×3, first 2 shown]
	v_fma_f16 v12, v13, s6, v12
	v_fma_f16 v14, v36, s4, v14
	v_add_f16_e32 v45, v45, v51
	v_fma_f16 v12, v36, s7, v12
	v_fma_f16 v49, v11, s5, v49
	v_add_f16_e32 v11, v24, v43
	;; [unrolled: 3-line block ×3, first 2 shown]
	v_add_f16_e32 v11, v11, v25
	v_fma_f16 v24, v45, -0.5, v24
	v_add_f16_e32 v11, v11, v26
	v_fma_f16 v45, v36, s6, v24
	v_fma_f16 v24, v36, s3, v24
	v_add_f16_e32 v36, v16, v17
	v_add_f16_e32 v11, v11, v27
	v_sub_f16_e32 v51, v25, v43
	v_sub_f16_e32 v52, v26, v27
	v_fma_f16 v36, v36, -0.5, v38
	v_sub_f16_e32 v27, v43, v27
	v_fma_f16 v45, v13, s4, v45
	v_add_f16_e32 v51, v51, v52
	v_fma_f16 v13, v13, s7, v24
	v_fma_f16 v43, v27, s6, v36
	v_sub_f16_e32 v25, v25, v26
	v_fma_f16 v45, v51, s5, v45
	v_fma_f16 v13, v51, s5, v13
	;; [unrolled: 1-line block ×3, first 2 shown]
	v_sub_f16_e32 v43, v15, v16
	v_sub_f16_e32 v51, v18, v17
	v_fma_f16 v36, v27, s3, v36
	v_add_f16_e32 v43, v43, v51
	v_fma_f16 v36, v25, s4, v36
	v_add_f16_e32 v24, v38, v15
	v_fma_f16 v26, v43, s5, v26
	v_fma_f16 v36, v43, s5, v36
	v_add_f16_e32 v43, v15, v18
	v_add_f16_e32 v24, v24, v16
	v_fma_f16 v38, v43, -0.5, v38
	v_sub_f16_e32 v15, v16, v15
	v_sub_f16_e32 v16, v17, v18
	v_add_f16_e32 v15, v15, v16
	v_fma_f16 v16, v25, s6, v38
	v_fma_f16 v16, v27, s4, v16
	;; [unrolled: 1-line block ×4, first 2 shown]
	v_add_f16_e32 v16, v29, v39
	v_add_f16_e32 v24, v24, v17
	v_fma_f16 v16, v16, -0.5, v34
	v_sub_f16_e32 v17, v19, v22
	v_add_f16_e32 v24, v24, v18
	v_fma_f16 v43, v27, s7, v43
	v_fma_f16 v18, v17, s3, v16
	v_sub_f16_e32 v27, v20, v21
	v_sub_f16_e32 v38, v37, v29
	;; [unrolled: 1-line block ×3, first 2 shown]
	v_fma_f16 v16, v17, s6, v16
	v_fma_f16 v18, v27, s4, v18
	v_add_f16_e32 v38, v38, v51
	v_fma_f16 v16, v27, s7, v16
	v_fma_f16 v18, v38, s5, v18
	;; [unrolled: 1-line block ×3, first 2 shown]
	v_add_f16_e32 v38, v37, v41
	v_fma_f16 v43, v15, s5, v43
	v_add_f16_e32 v15, v34, v37
	v_fma_f16 v34, v38, -0.5, v34
	v_add_f16_e32 v15, v15, v29
	v_fma_f16 v38, v27, s6, v34
	v_fma_f16 v27, v27, s3, v34
	v_add_f16_e32 v34, v20, v21
	v_add_f16_e32 v15, v15, v39
	v_sub_f16_e32 v51, v29, v37
	v_sub_f16_e32 v52, v39, v41
	v_fma_f16 v34, v34, -0.5, v50
	v_sub_f16_e32 v37, v37, v41
	v_add_f16_e32 v15, v15, v41
	v_fma_f16 v38, v17, s4, v38
	v_add_f16_e32 v51, v51, v52
	v_fma_f16 v17, v17, s7, v27
	v_fma_f16 v41, v37, s6, v34
	v_sub_f16_e32 v29, v29, v39
	v_fma_f16 v38, v51, s5, v38
	v_fma_f16 v17, v51, s5, v17
	;; [unrolled: 1-line block ×3, first 2 shown]
	v_sub_f16_e32 v41, v19, v20
	v_sub_f16_e32 v51, v22, v21
	v_fma_f16 v34, v37, s3, v34
	v_add_f16_e32 v41, v41, v51
	v_fma_f16 v34, v29, s4, v34
	v_add_f16_e32 v27, v50, v19
	v_fma_f16 v39, v41, s5, v39
	v_fma_f16 v34, v41, s5, v34
	v_add_f16_e32 v41, v19, v22
	v_add_f16_e32 v27, v27, v20
	v_fma_f16 v41, v41, -0.5, v50
	v_sub_f16_e32 v19, v20, v19
	v_sub_f16_e32 v20, v21, v22
	v_fma_f16 v50, v29, s3, v41
	v_add_f16_e32 v19, v19, v20
	v_fma_f16 v20, v29, s6, v41
	v_fma_f16 v50, v37, s7, v50
	;; [unrolled: 1-line block ×5, first 2 shown]
	v_mov_b32_e32 v19, 0x1fe
	v_cndmask_b32_e32 v19, 0, v19, vcc
	v_add_u32_e32 v19, 0, v19
	v_lshlrev_b32_e32 v20, 1, v30
	v_add3_u32 v30, v19, v20, v1
	v_lshlrev_b32_sdwa v19, v10, v31 dst_sel:DWORD dst_unused:UNUSED_PAD src0_sel:DWORD src1_sel:BYTE_0
	v_add3_u32 v4, v4, v19, v1
	ds_write_b16 v30, v40
	ds_write_b16 v30, v46 offset:102
	ds_write_b16 v30, v48 offset:204
	;; [unrolled: 1-line block ×4, first 2 shown]
	ds_write_b16 v4, v11
	ds_write_b16 v4, v14 offset:102
	ds_write_b16 v4, v45 offset:204
	;; [unrolled: 1-line block ×4, first 2 shown]
	v_mad_u32_u24 v11, v32, s10, 0
	v_lshlrev_b32_sdwa v10, v10, v35 dst_sel:DWORD dst_unused:UNUSED_PAD src0_sel:DWORD src1_sel:BYTE_0
	v_add_f16_e32 v27, v27, v21
	v_add3_u32 v31, v11, v10, v1
	v_add_f16_e32 v27, v27, v22
	ds_write_b16 v31, v15
	ds_write_b16 v31, v18 offset:102
	ds_write_b16 v31, v38 offset:204
	;; [unrolled: 1-line block ×4, first 2 shown]
	s_waitcnt lgkmcnt(0)
	s_barrier
	ds_read_u16 v1, v6
	ds_read_u16 v14, v7 offset:170
	ds_read_u16 v17, v7 offset:680
	;; [unrolled: 1-line block ×14, first 2 shown]
	s_waitcnt lgkmcnt(0)
	s_barrier
	ds_write_b16 v30, v44
	ds_write_b16 v30, v33 offset:102
	ds_write_b16 v30, v49 offset:204
	ds_write_b16 v30, v28 offset:306
	ds_write_b16 v30, v47 offset:408
	ds_write_b16 v4, v24
	ds_write_b16 v4, v26 offset:102
	ds_write_b16 v4, v43 offset:204
	ds_write_b16 v4, v25 offset:306
	ds_write_b16 v4, v36 offset:408
	;; [unrolled: 5-line block ×3, first 2 shown]
	s_waitcnt lgkmcnt(0)
	s_barrier
	s_and_saveexec_b64 s[10:11], s[0:1]
	s_cbranch_execz .LBB0_16
; %bb.15:
	v_lshlrev_b32_e32 v4, 2, v8
	v_lshlrev_b64 v[24:25], 2, v[4:5]
	v_mov_b32_e32 v32, s9
	v_add_co_u32_e32 v24, vcc, s8, v24
	v_addc_co_u32_e32 v25, vcc, v32, v25, vcc
	global_load_dwordx4 v[24:27], v[24:25], off offset:952
	v_lshlrev_b32_e32 v4, 2, v9
	v_lshlrev_b64 v[28:29], 2, v[4:5]
	ds_read_u16 v33, v7 offset:1360
	ds_read_u16 v34, v7 offset:1190
	ds_read_u16 v35, v7 offset:1020
	ds_read_u16 v36, v7 offset:850
	ds_read_u16 v37, v7 offset:680
	ds_read_u16 v38, v7 offset:510
	ds_read_u16 v39, v7 offset:340
	ds_read_u16 v40, v7 offset:170
	ds_read_u16 v41, v7 offset:2380
	ds_read_u16 v42, v7 offset:2210
	ds_read_u16 v43, v7 offset:2040
	ds_read_u16 v44, v7 offset:1870
	ds_read_u16 v45, v7 offset:1700
	ds_read_u16 v7, v7 offset:1530
	v_add_co_u32_e32 v28, vcc, s8, v28
	v_addc_co_u32_e32 v29, vcc, v32, v29, vcc
	global_load_dwordx4 v[28:31], v[28:29], off offset:952
	ds_read_u16 v6, v6
	s_mov_b32 s0, 0x80808081
	v_mul_hi_u32 v8, v8, s0
	s_waitcnt vmcnt(1)
	v_mul_f16_sdwa v4, v23, v25 dst_sel:DWORD dst_unused:UNUSED_PAD src0_sel:DWORD src1_sel:WORD_1
	v_mul_f16_sdwa v46, v20, v24 dst_sel:DWORD dst_unused:UNUSED_PAD src0_sel:DWORD src1_sel:WORD_1
	;; [unrolled: 1-line block ×4, first 2 shown]
	s_waitcnt lgkmcnt(11)
	v_mul_f16_sdwa v49, v36, v24 dst_sel:DWORD dst_unused:UNUSED_PAD src0_sel:DWORD src1_sel:WORD_1
	s_waitcnt lgkmcnt(6)
	v_mul_f16_sdwa v50, v41, v27 dst_sel:DWORD dst_unused:UNUSED_PAD src0_sel:DWORD src1_sel:WORD_1
	v_mul_f16_sdwa v51, v33, v25 dst_sel:DWORD dst_unused:UNUSED_PAD src0_sel:DWORD src1_sel:WORD_1
	s_waitcnt lgkmcnt(3)
	v_mul_f16_sdwa v52, v44, v26 dst_sel:DWORD dst_unused:UNUSED_PAD src0_sel:DWORD src1_sel:WORD_1
	v_fma_f16 v4, v33, v25, v4
	v_fma_f16 v33, v36, v24, v46
	;; [unrolled: 1-line block ×4, first 2 shown]
	v_fma_f16 v24, v20, v24, -v49
	v_fma_f16 v27, v22, v27, -v50
	;; [unrolled: 1-line block ×4, first 2 shown]
	v_sub_f16_e32 v20, v4, v33
	v_sub_f16_e32 v21, v36, v41
	v_add_f16_e32 v23, v33, v41
	v_sub_f16_e32 v46, v33, v4
	v_sub_f16_e32 v47, v41, v36
	v_add_f16_e32 v49, v33, v39
	v_add_f16_e32 v52, v24, v27
	;; [unrolled: 1-line block ×3, first 2 shown]
	v_sub_f16_e32 v53, v4, v36
	v_add_f16_e32 v20, v20, v21
	v_fma_f16 v21, v23, -0.5, v39
	v_add_f16_e32 v23, v46, v47
	v_add_f16_e32 v4, v4, v49
	v_fma_f16 v47, v52, -0.5, v19
	v_sub_f16_e32 v22, v24, v27
	v_sub_f16_e32 v44, v25, v26
	;; [unrolled: 1-line block ×5, first 2 shown]
	v_add_f16_e32 v56, v25, v26
	v_fma_f16 v39, v48, -0.5, v39
	v_add_f16_e32 v4, v36, v4
	v_fma_f16 v36, v53, s3, v47
	v_add_f16_e32 v46, v50, v51
	v_fma_f16 v49, v56, -0.5, v19
	v_fma_f16 v50, v44, s6, v21
	v_fma_f16 v21, v44, s3, v21
	;; [unrolled: 1-line block ×3, first 2 shown]
	v_add_f16_e32 v41, v41, v4
	v_fma_f16 v4, v33, s7, v36
	v_sub_f16_e32 v54, v24, v25
	v_sub_f16_e32 v55, v27, v26
	v_fma_f16 v39, v22, s6, v39
	v_fma_f16 v47, v53, s6, v47
	;; [unrolled: 1-line block ×7, first 2 shown]
	v_add_f16_e32 v48, v54, v55
	v_fma_f16 v36, v33, s4, v47
	v_fma_f16 v4, v53, s7, v4
	;; [unrolled: 1-line block ×4, first 2 shown]
	v_lshlrev_b32_e32 v4, 2, v0
	v_fma_f16 v39, v44, s7, v39
	v_fma_f16 v44, v20, s5, v50
	;; [unrolled: 1-line block ×3, first 2 shown]
	v_lshlrev_b64 v[20:21], 2, v[4:5]
	v_fma_f16 v50, v23, s5, v22
	v_add_co_u32_e32 v20, vcc, s8, v20
	v_addc_co_u32_e32 v21, vcc, v32, v21, vcc
	v_fma_f16 v39, v23, s5, v39
	global_load_dwordx4 v[20:23], v[20:21], off offset:952
	v_fma_f16 v33, v33, s3, v49
	v_fma_f16 v4, v53, s4, v33
	;; [unrolled: 1-line block ×3, first 2 shown]
	v_add_f16_e32 v4, v19, v24
	v_add_f16_e32 v4, v25, v4
	;; [unrolled: 1-line block ×4, first 2 shown]
	s_waitcnt vmcnt(1)
	v_mul_f16_sdwa v4, v16, v29 dst_sel:DWORD dst_unused:UNUSED_PAD src0_sel:DWORD src1_sel:WORD_1
	v_mul_f16_sdwa v24, v17, v28 dst_sel:DWORD dst_unused:UNUSED_PAD src0_sel:DWORD src1_sel:WORD_1
	;; [unrolled: 1-line block ×4, first 2 shown]
	v_fma_f16 v4, v34, v29, v4
	v_fma_f16 v24, v37, v28, v24
	s_waitcnt lgkmcnt(2)
	v_fma_f16 v26, v45, v30, v26
	v_fma_f16 v27, v42, v31, v27
	v_sub_f16_e32 v25, v4, v24
	v_sub_f16_e32 v33, v26, v27
	v_add_f16_e32 v25, v25, v33
	v_mul_f16_sdwa v33, v37, v28 dst_sel:DWORD dst_unused:UNUSED_PAD src0_sel:DWORD src1_sel:WORD_1
	v_fma_f16 v17, v17, v28, -v33
	v_mul_f16_sdwa v33, v34, v29 dst_sel:DWORD dst_unused:UNUSED_PAD src0_sel:DWORD src1_sel:WORD_1
	v_mul_f16_sdwa v28, v42, v31 dst_sel:DWORD dst_unused:UNUSED_PAD src0_sel:DWORD src1_sel:WORD_1
	v_fma_f16 v16, v16, v29, -v33
	v_mul_f16_sdwa v29, v45, v30 dst_sel:DWORD dst_unused:UNUSED_PAD src0_sel:DWORD src1_sel:WORD_1
	v_fma_f16 v18, v18, v31, -v28
	v_add_f16_e32 v31, v24, v27
	v_fma_f16 v15, v15, v30, -v29
	v_fma_f16 v31, v31, -0.5, v40
	v_sub_f16_e32 v29, v16, v15
	v_sub_f16_e32 v33, v16, v17
	;; [unrolled: 1-line block ×4, first 2 shown]
	v_fma_f16 v30, v29, s6, v31
	v_add_f16_e32 v33, v33, v34
	v_add_f16_e32 v34, v17, v18
	v_fma_f16 v31, v29, s3, v31
	v_fma_f16 v30, v28, s4, v30
	v_fma_f16 v34, v34, -0.5, v14
	v_sub_f16_e32 v37, v4, v26
	v_fma_f16 v31, v28, s7, v31
	v_fma_f16 v30, v25, s5, v30
	;; [unrolled: 1-line block ×3, first 2 shown]
	v_sub_f16_e32 v45, v24, v27
	v_fma_f16 v25, v25, s5, v31
	v_fma_f16 v31, v37, s6, v34
	;; [unrolled: 1-line block ×6, first 2 shown]
	v_sub_f16_e32 v33, v24, v4
	v_sub_f16_e32 v34, v27, v26
	v_add_f16_e32 v24, v24, v40
	v_add_f16_e32 v33, v33, v34
	;; [unrolled: 1-line block ×7, first 2 shown]
	v_sub_f16_e32 v49, v17, v16
	v_sub_f16_e32 v52, v18, v15
	v_add_f16_e32 v4, v16, v4
	v_fma_f16 v34, v34, -0.5, v40
	v_add_f16_e32 v49, v49, v52
	v_add_f16_e32 v52, v16, v15
	;; [unrolled: 1-line block ×3, first 2 shown]
	v_fma_f16 v52, v52, -0.5, v14
	v_add_f16_e32 v14, v4, v18
	v_fma_f16 v4, v28, s3, v34
	v_fma_f16 v4, v29, s4, v4
	;; [unrolled: 1-line block ×10, first 2 shown]
	v_add_co_u32_e32 v2, vcc, s12, v2
	s_waitcnt vmcnt(0)
	v_mul_f16_sdwa v4, v10, v20 dst_sel:DWORD dst_unused:UNUSED_PAD src0_sel:DWORD src1_sel:WORD_1
	v_mul_f16_sdwa v17, v11, v21 dst_sel:DWORD dst_unused:UNUSED_PAD src0_sel:DWORD src1_sel:WORD_1
	;; [unrolled: 1-line block ×4, first 2 shown]
	v_fma_f16 v4, v38, v20, v4
	v_fma_f16 v17, v35, v21, v17
	;; [unrolled: 1-line block ×3, first 2 shown]
	s_waitcnt lgkmcnt(1)
	v_fma_f16 v27, v7, v22, v27
	v_sub_f16_e32 v18, v4, v17
	v_sub_f16_e32 v28, v26, v27
	v_add_f16_e32 v18, v18, v28
	v_mul_f16_sdwa v28, v35, v21 dst_sel:DWORD dst_unused:UNUSED_PAD src0_sel:DWORD src1_sel:WORD_1
	v_fma_f16 v11, v11, v21, -v28
	v_mul_f16_sdwa v21, v38, v20 dst_sel:DWORD dst_unused:UNUSED_PAD src0_sel:DWORD src1_sel:WORD_1
	v_mul_f16_sdwa v7, v7, v22 dst_sel:DWORD dst_unused:UNUSED_PAD src0_sel:DWORD src1_sel:WORD_1
	v_fma_f16 v10, v10, v20, -v21
	v_mul_f16_sdwa v20, v43, v23 dst_sel:DWORD dst_unused:UNUSED_PAD src0_sel:DWORD src1_sel:WORD_1
	v_fma_f16 v7, v13, v22, -v7
	v_fma_f16 v12, v12, v23, -v20
	v_sub_f16_e32 v23, v10, v11
	v_sub_f16_e32 v28, v12, v7
	v_sub_f16_e32 v40, v11, v10
	v_sub_f16_e32 v43, v7, v12
	v_add_f16_e32 v23, v23, v28
	v_add_f16_e32 v28, v11, v7
	v_sub_f16_e32 v35, v17, v4
	v_sub_f16_e32 v37, v27, v26
	v_add_f16_e32 v40, v40, v43
	v_add_f16_e32 v43, v10, v12
	v_fma_f16 v28, v28, -0.5, v1
	v_add_f16_e32 v35, v35, v37
	v_add_f16_e32 v37, v4, v26
	v_fma_f16 v43, v43, -0.5, v1
	v_add_f16_e32 v1, v1, v10
	v_sub_f16_e32 v13, v11, v7
	v_add_f16_e32 v21, v17, v27
	s_waitcnt lgkmcnt(0)
	v_fma_f16 v37, v37, -0.5, v6
	v_add_f16_e32 v1, v1, v11
	v_sub_f16_e32 v20, v10, v12
	v_fma_f16 v21, v21, -0.5, v6
	v_fma_f16 v38, v13, s6, v37
	v_fma_f16 v37, v13, s3, v37
	v_add_f16_e32 v1, v1, v7
	v_fma_f16 v22, v20, s3, v21
	v_sub_f16_e32 v29, v4, v26
	v_fma_f16 v38, v20, s4, v38
	v_fma_f16 v37, v20, s7, v37
	;; [unrolled: 1-line block ×3, first 2 shown]
	v_add_f16_e32 v4, v4, v6
	v_add_f16_e32 v6, v12, v1
	v_mov_b32_e32 v1, v5
	v_fma_f16 v22, v13, s4, v22
	v_fma_f16 v13, v13, s7, v20
	v_add_f16_e32 v4, v17, v4
	v_mov_b32_e32 v7, s13
	v_lshlrev_b64 v[0:1], 2, v[0:1]
	v_fma_f16 v22, v18, s5, v22
	v_sub_f16_e32 v34, v17, v27
	v_fma_f16 v13, v18, s5, v13
	v_fma_f16 v18, v29, s3, v28
	v_add_f16_e32 v4, v27, v4
	v_addc_co_u32_e32 v3, vcc, v7, v3, vcc
	v_fma_f16 v38, v35, s5, v38
	v_fma_f16 v35, v35, s5, v37
	;; [unrolled: 1-line block ×4, first 2 shown]
	v_add_f16_e32 v4, v26, v4
	v_add_co_u32_e32 v0, vcc, v2, v0
	v_fma_f16 v45, v34, s3, v43
	v_fma_f16 v37, v29, s4, v37
	;; [unrolled: 1-line block ×3, first 2 shown]
	v_addc_co_u32_e32 v1, vcc, v3, v1, vcc
	v_pack_b32_f16 v2, v6, v4
	v_fma_f16 v48, v33, s5, v48
	v_fma_f16 v33, v29, s6, v28
	;; [unrolled: 1-line block ×4, first 2 shown]
	global_store_dword v[0:1], v2, off
	v_pack_b32_f16 v2, v18, v13
	v_mul_hi_u32 v3, v9, s0
	v_fma_f16 v33, v34, s7, v33
	v_fma_f16 v45, v40, s5, v45
	global_store_dword v[0:1], v2, off offset:1020
	v_pack_b32_f16 v2, v37, v35
	v_fma_f16 v33, v23, s5, v33
	global_store_dword v[0:1], v2, off offset:2040
	v_pack_b32_f16 v2, v45, v38
	global_store_dword v[0:1], v2, off offset:3060
	v_pack_b32_f16 v2, v33, v22
	global_store_dword v[0:1], v2, off offset:4080
	v_lshrrev_b32_e32 v2, 7, v3
	v_mul_u32_u24_e32 v4, 0x3fc, v2
	v_lshlrev_b64 v[2:3], 2, v[4:5]
	v_fma_f16 v53, v49, s5, v53
	v_add_co_u32_e32 v2, vcc, v0, v2
	v_addc_co_u32_e32 v3, vcc, v1, v3, vcc
	v_pack_b32_f16 v4, v14, v24
	global_store_dword v[2:3], v4, off offset:340
	v_pack_b32_f16 v4, v53, v48
	global_store_dword v[2:3], v4, off offset:1360
	v_pack_b32_f16 v4, v31, v25
	v_add_co_u32_e32 v6, vcc, s2, v2
	global_store_dword v[2:3], v4, off offset:2380
	v_pack_b32_f16 v4, v42, v30
	v_addc_co_u32_e32 v7, vcc, 0, v3, vcc
	global_store_dword v[2:3], v4, off offset:3400
	v_pack_b32_f16 v2, v16, v15
	global_store_dword v[6:7], v2, off offset:4080
	v_lshrrev_b32_e32 v2, 7, v8
	v_mul_u32_u24_e32 v4, 0x3fc, v2
	v_lshlrev_b64 v[2:3], 2, v[4:5]
	v_pack_b32_f16 v4, v19, v41
	v_add_co_u32_e32 v0, vcc, v0, v2
	v_addc_co_u32_e32 v1, vcc, v1, v3, vcc
	global_store_dword v[0:1], v4, off offset:680
	v_pack_b32_f16 v4, v32, v39
	global_store_dword v[0:1], v4, off offset:1700
	v_pack_b32_f16 v4, v36, v47
	v_add_co_u32_e32 v2, vcc, 0x2a8, v0
	global_store_dword v[0:1], v4, off offset:2720
	v_pack_b32_f16 v4, v51, v44
	v_addc_co_u32_e32 v3, vcc, 0, v1, vcc
	global_store_dword v[0:1], v4, off offset:3740
	v_pack_b32_f16 v0, v46, v50
	global_store_dword v[2:3], v0, off offset:4080
.LBB0_16:
	s_endpgm
	.section	.rodata,"a",@progbits
	.p2align	6, 0x0
	.amdhsa_kernel fft_rtc_fwd_len1275_factors_17_3_5_5_wgs_255_tpt_85_halfLds_half_ip_CI_unitstride_sbrr_dirReg
		.amdhsa_group_segment_fixed_size 0
		.amdhsa_private_segment_fixed_size 0
		.amdhsa_kernarg_size 88
		.amdhsa_user_sgpr_count 6
		.amdhsa_user_sgpr_private_segment_buffer 1
		.amdhsa_user_sgpr_dispatch_ptr 0
		.amdhsa_user_sgpr_queue_ptr 0
		.amdhsa_user_sgpr_kernarg_segment_ptr 1
		.amdhsa_user_sgpr_dispatch_id 0
		.amdhsa_user_sgpr_flat_scratch_init 0
		.amdhsa_user_sgpr_private_segment_size 0
		.amdhsa_uses_dynamic_stack 0
		.amdhsa_system_sgpr_private_segment_wavefront_offset 0
		.amdhsa_system_sgpr_workgroup_id_x 1
		.amdhsa_system_sgpr_workgroup_id_y 0
		.amdhsa_system_sgpr_workgroup_id_z 0
		.amdhsa_system_sgpr_workgroup_info 0
		.amdhsa_system_vgpr_workitem_id 0
		.amdhsa_next_free_vgpr 83
		.amdhsa_next_free_sgpr 43
		.amdhsa_reserve_vcc 1
		.amdhsa_reserve_flat_scratch 0
		.amdhsa_float_round_mode_32 0
		.amdhsa_float_round_mode_16_64 0
		.amdhsa_float_denorm_mode_32 3
		.amdhsa_float_denorm_mode_16_64 3
		.amdhsa_dx10_clamp 1
		.amdhsa_ieee_mode 1
		.amdhsa_fp16_overflow 0
		.amdhsa_exception_fp_ieee_invalid_op 0
		.amdhsa_exception_fp_denorm_src 0
		.amdhsa_exception_fp_ieee_div_zero 0
		.amdhsa_exception_fp_ieee_overflow 0
		.amdhsa_exception_fp_ieee_underflow 0
		.amdhsa_exception_fp_ieee_inexact 0
		.amdhsa_exception_int_div_zero 0
	.end_amdhsa_kernel
	.text
.Lfunc_end0:
	.size	fft_rtc_fwd_len1275_factors_17_3_5_5_wgs_255_tpt_85_halfLds_half_ip_CI_unitstride_sbrr_dirReg, .Lfunc_end0-fft_rtc_fwd_len1275_factors_17_3_5_5_wgs_255_tpt_85_halfLds_half_ip_CI_unitstride_sbrr_dirReg
                                        ; -- End function
	.section	.AMDGPU.csdata,"",@progbits
; Kernel info:
; codeLenInByte = 11444
; NumSgprs: 47
; NumVgprs: 83
; ScratchSize: 0
; MemoryBound: 0
; FloatMode: 240
; IeeeMode: 1
; LDSByteSize: 0 bytes/workgroup (compile time only)
; SGPRBlocks: 5
; VGPRBlocks: 20
; NumSGPRsForWavesPerEU: 47
; NumVGPRsForWavesPerEU: 83
; Occupancy: 3
; WaveLimiterHint : 1
; COMPUTE_PGM_RSRC2:SCRATCH_EN: 0
; COMPUTE_PGM_RSRC2:USER_SGPR: 6
; COMPUTE_PGM_RSRC2:TRAP_HANDLER: 0
; COMPUTE_PGM_RSRC2:TGID_X_EN: 1
; COMPUTE_PGM_RSRC2:TGID_Y_EN: 0
; COMPUTE_PGM_RSRC2:TGID_Z_EN: 0
; COMPUTE_PGM_RSRC2:TIDIG_COMP_CNT: 0
	.type	__hip_cuid_21f5af6e764a00ce,@object ; @__hip_cuid_21f5af6e764a00ce
	.section	.bss,"aw",@nobits
	.globl	__hip_cuid_21f5af6e764a00ce
__hip_cuid_21f5af6e764a00ce:
	.byte	0                               ; 0x0
	.size	__hip_cuid_21f5af6e764a00ce, 1

	.ident	"AMD clang version 19.0.0git (https://github.com/RadeonOpenCompute/llvm-project roc-6.4.0 25133 c7fe45cf4b819c5991fe208aaa96edf142730f1d)"
	.section	".note.GNU-stack","",@progbits
	.addrsig
	.addrsig_sym __hip_cuid_21f5af6e764a00ce
	.amdgpu_metadata
---
amdhsa.kernels:
  - .args:
      - .actual_access:  read_only
        .address_space:  global
        .offset:         0
        .size:           8
        .value_kind:     global_buffer
      - .offset:         8
        .size:           8
        .value_kind:     by_value
      - .actual_access:  read_only
        .address_space:  global
        .offset:         16
        .size:           8
        .value_kind:     global_buffer
      - .actual_access:  read_only
        .address_space:  global
        .offset:         24
        .size:           8
        .value_kind:     global_buffer
      - .offset:         32
        .size:           8
        .value_kind:     by_value
      - .actual_access:  read_only
        .address_space:  global
        .offset:         40
        .size:           8
        .value_kind:     global_buffer
      - .actual_access:  read_only
        .address_space:  global
        .offset:         48
        .size:           8
        .value_kind:     global_buffer
      - .offset:         56
        .size:           4
        .value_kind:     by_value
      - .actual_access:  read_only
        .address_space:  global
        .offset:         64
        .size:           8
        .value_kind:     global_buffer
      - .actual_access:  read_only
        .address_space:  global
        .offset:         72
        .size:           8
        .value_kind:     global_buffer
      - .address_space:  global
        .offset:         80
        .size:           8
        .value_kind:     global_buffer
    .group_segment_fixed_size: 0
    .kernarg_segment_align: 8
    .kernarg_segment_size: 88
    .language:       OpenCL C
    .language_version:
      - 2
      - 0
    .max_flat_workgroup_size: 255
    .name:           fft_rtc_fwd_len1275_factors_17_3_5_5_wgs_255_tpt_85_halfLds_half_ip_CI_unitstride_sbrr_dirReg
    .private_segment_fixed_size: 0
    .sgpr_count:     47
    .sgpr_spill_count: 0
    .symbol:         fft_rtc_fwd_len1275_factors_17_3_5_5_wgs_255_tpt_85_halfLds_half_ip_CI_unitstride_sbrr_dirReg.kd
    .uniform_work_group_size: 1
    .uses_dynamic_stack: false
    .vgpr_count:     83
    .vgpr_spill_count: 0
    .wavefront_size: 64
amdhsa.target:   amdgcn-amd-amdhsa--gfx906
amdhsa.version:
  - 1
  - 2
...

	.end_amdgpu_metadata
